;; amdgpu-corpus repo=zjin-lcf/HeCBench kind=compiled arch=gfx1250 opt=O3
	.amdgcn_target "amdgcn-amd-amdhsa--gfx1250"
	.amdhsa_code_object_version 6
	.text
	.protected	_Z8DCT2D8x8PfPKfj       ; -- Begin function _Z8DCT2D8x8PfPKfj
	.globl	_Z8DCT2D8x8PfPKfj
	.p2align	8
	.type	_Z8DCT2D8x8PfPKfj,@function
_Z8DCT2D8x8PfPKfj:                      ; @_Z8DCT2D8x8PfPKfj
; %bb.0:
	s_bfe_u32 s3, ttmp6, 0x4000c
	s_load_b32 s2, s[0:1], 0x10
	s_add_co_i32 s3, s3, 1
	v_lshrrev_b32_e32 v1, 4, v0
	s_and_b32 s4, ttmp6, 15
	s_mul_i32 s3, ttmp9, s3
	s_getreg_b32 s5, hwreg(HW_REG_IB_STS2, 6, 4)
	s_add_co_i32 s4, s4, s3
	s_cmp_eq_u32 s5, 0
	v_and_b32_e32 v2, 0xffc0, v1
	s_cselect_b32 s3, ttmp9, s4
	s_mov_b32 s5, 0
	s_lshl_b32 s4, s3, 10
	s_delay_alu instid0(VALU_DEP_1) | instid1(SALU_CYCLE_1)
	v_add_nc_u32_e32 v1, s4, v2
	s_delay_alu instid0(VALU_DEP_1) | instskip(SKIP_1) | instid1(VALU_DEP_1)
	v_or_b32_e32 v1, 63, v1
	s_wait_kmcnt 0x0
	v_cmp_gt_u32_e32 vcc_lo, s2, v1
	s_and_saveexec_b32 s2, vcc_lo
	s_cbranch_execz .LBB0_2
; %bb.1:
	s_load_b128 s[0:3], s[0:1], 0x0
	v_and_b32_e32 v1, 0x3ff, v0
	s_lshl_b64 s[4:5], s[4:5], 2
	v_mov_b64_e32 v[14:15], 0x3fb18a863f968317
	v_mov_b64_e32 v[20:21], 0x3f9683173e8d42af
	;; [unrolled: 1-line block ×3, first 2 shown]
	v_dual_add_nc_u32 v0, v2, v1 :: v_dual_lshlrev_b32 v11, 5, v1
	v_mov_b64_e32 v[16:17], 0x3f49234e3f0a8bd4
	s_delay_alu instid0(VALU_DEP_2) | instskip(NEXT) | instid1(VALU_DEP_3)
	v_lshlrev_b32_e32 v1, 2, v0
	v_lshl_add_u32 v36, v2, 2, v11
	s_wait_kmcnt 0x0
	s_add_nc_u64 s[2:3], s[2:3], s[4:5]
	s_add_nc_u64 s[0:1], s[0:1], s[4:5]
	s_clause 0x7
	global_load_b32 v3, v0, s[2:3] scale_offset
	global_load_b32 v4, v0, s[2:3] offset:32 scale_offset
	global_load_b32 v5, v0, s[2:3] offset:64 scale_offset
	;; [unrolled: 1-line block ×7, first 2 shown]
	s_wait_xcnt 0x0
	s_mov_b32 s2, 0x3eb504f3
	s_wait_loadcnt 0x7
	ds_store_b32 v1, v3
	s_wait_loadcnt 0x6
	ds_store_b32 v1, v4 offset:32
	s_wait_loadcnt 0x5
	ds_store_b32 v1, v5 offset:64
	;; [unrolled: 2-line block ×7, first 2 shown]
	ds_load_b96 v[2:4], v36
	ds_load_b32 v5, v36 offset:20
	ds_load_b64 v[6:7], v36 offset:24
	ds_load_2addr_b32 v[8:9], v36 offset0:3 offset1:4
	v_mov_b32_e32 v13, 0x3e8d42af
	v_mov_b64_e32 v[10:11], 0xbf968317bfb18a86
	s_wait_dscnt 0x3
	v_dual_mov_b32 v24, v3 :: v_dual_mov_b32 v25, v4
	s_wait_dscnt 0x1
	v_dual_mov_b32 v12, v7 :: v_dual_sub_f32 v23, v4, v5
	v_dual_mov_b32 v4, v6 :: v_dual_mov_b32 v26, v2
	v_mov_b32_e32 v27, v6
	s_wait_dscnt 0x0
	v_pk_add_f32 v[28:29], v[8:9], v[8:9] op_sel:[0,1] op_sel_hi:[1,0]
	v_pk_add_f32 v[8:9], v[8:9], v[8:9] op_sel:[0,1] op_sel_hi:[1,0] neg_lo:[0,1] neg_hi:[0,1]
	v_pk_add_f32 v[30:31], v[2:3], v[12:13]
	v_mov_b32_e32 v2, v7
	v_pk_add_f32 v[4:5], v[24:25], v[4:5]
	s_delay_alu instid0(VALU_DEP_4) | instskip(NEXT) | instid1(VALU_DEP_4)
	v_dual_mov_b32 v6, v28 :: v_dual_mov_b32 v7, v9
	v_mov_b32_e32 v12, v30
	s_delay_alu instid0(VALU_DEP_4) | instskip(NEXT) | instid1(VALU_DEP_4)
	v_pk_add_f32 v[2:3], v[26:27], v[2:3] neg_lo:[0,1] neg_hi:[0,1]
	v_mov_b32_e32 v32, v5
	v_pk_add_f32 v[28:29], v[28:29], v[30:31]
	v_pk_add_f32 v[6:7], v[30:31], v[6:7] neg_lo:[0,1] neg_hi:[0,1]
	s_delay_alu instid0(VALU_DEP_4) | instskip(SKIP_3) | instid1(VALU_DEP_4)
	v_dual_mov_b32 v7, v9 :: v_dual_mul_f32 v30, 0x3fb18a86, v2
	v_dual_mov_b32 v22, v2 :: v_dual_mul_f32 v33, 0x3f49234e, v23
	v_mov_b32_e32 v26, v5
	v_mov_b64_e32 v[24:25], 0x3fb18a863f0a8bd4
	v_pk_fma_f32 v[10:11], v[2:3], v[10:11], v[30:31] op_sel_hi:[1,1,0]
	v_mov_b32_e32 v10, v4
	v_pk_mul_f32 v[14:15], v[22:23], v[14:15]
	v_pk_mul_f32 v[20:21], v[22:23], v[20:21]
	v_pk_add_f32 v[26:27], v[4:5], v[26:27] neg_lo:[0,1] neg_hi:[0,1]
	v_pk_mul_f32 v[4:5], v[22:23], v[18:19]
	v_pk_add_f32 v[10:11], v[10:11], v[32:33]
	v_dual_mul_f32 v34, 0x3fa73d75, v6 :: v_dual_mov_b32 v27, v9
	v_fmamk_f32 v18, v3, 0x3f49234e, v20
	v_fmamk_f32 v14, v3, 0x3e8d42af, v14
	s_delay_alu instid0(VALU_DEP_4) | instskip(NEXT) | instid1(VALU_DEP_3)
	v_pk_fma_f32 v[12:13], v[8:9], v[12:13], v[10:11] neg_lo:[1,0,0] neg_hi:[1,0,0]
	v_dual_fmamk_f32 v4, v3, 0x3fb18a86, v4 :: v_dual_add_f32 v3, v18, v21
	s_delay_alu instid0(VALU_DEP_3) | instskip(SKIP_1) | instid1(VALU_DEP_4)
	v_sub_f32_e32 v35, v14, v15
	v_pk_add_f32 v[14:15], v[10:11], v[28:29]
	v_dual_mov_b32 v15, v13 :: v_dual_mul_f32 v2, 0x3fa73d75, v26
	s_delay_alu instid0(VALU_DEP_4) | instskip(SKIP_1) | instid1(VALU_DEP_3)
	v_add_f32_e32 v29, v4, v5
	v_mul_f32_e32 v11, 0x3f968317, v9
	v_pk_fma_f32 v[4:5], v[8:9], v[24:25], v[2:3]
	v_pk_fma_f32 v[8:9], v[26:27], v[16:17], v[34:35]
	v_pk_fma_f32 v[16:17], v[6:7], v[24:25], v[2:3] neg_lo:[0,0,1] neg_hi:[0,0,1]
	s_delay_alu instid0(VALU_DEP_4) | instskip(SKIP_3) | instid1(VALU_DEP_4)
	v_pk_add_f32 v[6:7], v[28:29], v[10:11] neg_lo:[0,1] neg_hi:[0,1]
	v_pk_mul_f32 v[2:3], v[14:15], s[2:3] op_sel_hi:[1,0]
	v_mov_b32_e32 v17, v5
	v_pk_mul_f32 v[4:5], v[8:9], s[2:3] op_sel_hi:[1,0]
	v_pk_mul_f32 v[6:7], v[6:7], s[2:3] op_sel_hi:[1,0]
	s_delay_alu instid0(VALU_DEP_3)
	v_pk_mul_f32 v[8:9], v[16:17], s[2:3] op_sel_hi:[1,0]
	ds_store_b128 v36, v[2:5]
	ds_store_b128 v36, v[6:9] offset:16
	ds_load_2addr_b32 v[2:3], v1 offset0:48 offset1:56
	ds_load_2addr_b32 v[4:5], v1 offset1:8
	ds_load_2addr_b32 v[6:7], v1 offset0:16 offset1:24
	ds_load_2addr_b32 v[8:9], v1 offset0:32 offset1:40
	s_wait_dscnt 0x2
	v_dual_add_f32 v10, v4, v3 :: v_dual_add_f32 v11, v5, v2
	s_wait_dscnt 0x0
	v_dual_add_f32 v12, v6, v9 :: v_dual_add_f32 v13, v7, v8
	v_dual_sub_f32 v3, v4, v3 :: v_dual_sub_f32 v2, v2, v5
	v_dual_sub_f32 v4, v6, v9 :: v_dual_sub_f32 v5, v8, v7
	s_delay_alu instid0(VALU_DEP_3) | instskip(NEXT) | instid1(VALU_DEP_3)
	v_dual_add_f32 v6, v10, v13 :: v_dual_sub_f32 v7, v10, v13
	v_mul_f32_e32 v10, 0xbf968317, v2
	v_dual_add_f32 v8, v11, v12 :: v_dual_sub_f32 v9, v11, v12
	v_mul_f32_e32 v11, 0x3e8d42af, v2
	v_mul_f32_e32 v12, 0x3fb18a86, v2
	;; [unrolled: 1-line block ×3, first 2 shown]
	s_delay_alu instid0(VALU_DEP_4)
	v_dual_fmac_f32 v10, 0x3fb18a86, v3 :: v_dual_add_f32 v13, v8, v6
	v_mul_f32_e32 v14, 0x3fa73d75, v7
	v_sub_f32_e32 v6, v6, v8
	v_mul_f32_e32 v8, 0x3fa73d75, v9
	v_fmac_f32_e32 v2, 0x3e8d42af, v3
	v_fmac_f32_e32 v11, 0x3f968317, v3
	v_fmac_f32_e32 v12, 0x3f49234e, v3
	v_fmac_f32_e32 v10, 0x3f49234e, v4
	v_fma_f32 v7, 0x3f0a8bd4, v7, -v8
	v_fmac_f32_e32 v2, 0x3f968317, v4
	v_fmamk_f32 v8, v4, 0xbfb18a86, v11
	v_fmac_f32_e32 v12, 0x3e8d42af, v4
	v_fmac_f32_e32 v14, 0x3f0a8bd4, v9
	v_fmamk_f32 v9, v5, 0xbe8d42af, v10
	v_dual_mul_f32 v3, 0x3eb504f3, v13 :: v_dual_mul_f32 v6, 0x3eb504f3, v6
	v_fmac_f32_e32 v8, 0x3f49234e, v5
	v_fmac_f32_e32 v12, 0xbf968317, v5
	;; [unrolled: 1-line block ×3, first 2 shown]
	v_dual_mul_f32 v4, 0x3eb504f3, v14 :: v_dual_mul_f32 v5, 0x3eb504f3, v7
	s_delay_alu instid0(VALU_DEP_4) | instskip(NEXT) | instid1(VALU_DEP_3)
	v_dual_mul_f32 v7, 0x3eb504f3, v9 :: v_dual_mul_f32 v8, 0x3eb504f3, v8
	v_dual_mul_f32 v9, 0x3eb504f3, v12 :: v_dual_mul_f32 v2, 0x3eb504f3, v2
	ds_store_b32 v1, v3
	ds_store_b32 v1, v4 offset:64
	ds_store_b32 v1, v6 offset:128
	;; [unrolled: 1-line block ×7, first 2 shown]
	s_clause 0x7
	global_store_b32 v0, v3, s[0:1] scale_offset
	global_store_b32 v0, v7, s[0:1] offset:32 scale_offset
	global_store_b32 v0, v4, s[0:1] offset:64 scale_offset
	;; [unrolled: 1-line block ×7, first 2 shown]
.LBB0_2:
	s_endpgm
	.section	.rodata,"a",@progbits
	.p2align	6, 0x0
	.amdhsa_kernel _Z8DCT2D8x8PfPKfj
		.amdhsa_group_segment_fixed_size 4128
		.amdhsa_private_segment_fixed_size 0
		.amdhsa_kernarg_size 20
		.amdhsa_user_sgpr_count 2
		.amdhsa_user_sgpr_dispatch_ptr 0
		.amdhsa_user_sgpr_queue_ptr 0
		.amdhsa_user_sgpr_kernarg_segment_ptr 1
		.amdhsa_user_sgpr_dispatch_id 0
		.amdhsa_user_sgpr_kernarg_preload_length 0
		.amdhsa_user_sgpr_kernarg_preload_offset 0
		.amdhsa_user_sgpr_private_segment_size 0
		.amdhsa_wavefront_size32 1
		.amdhsa_uses_dynamic_stack 0
		.amdhsa_enable_private_segment 0
		.amdhsa_system_sgpr_workgroup_id_x 1
		.amdhsa_system_sgpr_workgroup_id_y 0
		.amdhsa_system_sgpr_workgroup_id_z 0
		.amdhsa_system_sgpr_workgroup_info 0
		.amdhsa_system_vgpr_workitem_id 1
		.amdhsa_next_free_vgpr 37
		.amdhsa_next_free_sgpr 6
		.amdhsa_named_barrier_count 0
		.amdhsa_reserve_vcc 1
		.amdhsa_float_round_mode_32 0
		.amdhsa_float_round_mode_16_64 0
		.amdhsa_float_denorm_mode_32 3
		.amdhsa_float_denorm_mode_16_64 3
		.amdhsa_fp16_overflow 0
		.amdhsa_memory_ordered 1
		.amdhsa_forward_progress 1
		.amdhsa_inst_pref_size 11
		.amdhsa_round_robin_scheduling 0
		.amdhsa_exception_fp_ieee_invalid_op 0
		.amdhsa_exception_fp_denorm_src 0
		.amdhsa_exception_fp_ieee_div_zero 0
		.amdhsa_exception_fp_ieee_overflow 0
		.amdhsa_exception_fp_ieee_underflow 0
		.amdhsa_exception_fp_ieee_inexact 0
		.amdhsa_exception_int_div_zero 0
	.end_amdhsa_kernel
	.text
.Lfunc_end0:
	.size	_Z8DCT2D8x8PfPKfj, .Lfunc_end0-_Z8DCT2D8x8PfPKfj
                                        ; -- End function
	.set _Z8DCT2D8x8PfPKfj.num_vgpr, 37
	.set _Z8DCT2D8x8PfPKfj.num_agpr, 0
	.set _Z8DCT2D8x8PfPKfj.numbered_sgpr, 6
	.set _Z8DCT2D8x8PfPKfj.num_named_barrier, 0
	.set _Z8DCT2D8x8PfPKfj.private_seg_size, 0
	.set _Z8DCT2D8x8PfPKfj.uses_vcc, 1
	.set _Z8DCT2D8x8PfPKfj.uses_flat_scratch, 0
	.set _Z8DCT2D8x8PfPKfj.has_dyn_sized_stack, 0
	.set _Z8DCT2D8x8PfPKfj.has_recursion, 0
	.set _Z8DCT2D8x8PfPKfj.has_indirect_call, 0
	.section	.AMDGPU.csdata,"",@progbits
; Kernel info:
; codeLenInByte = 1364
; TotalNumSgprs: 8
; NumVgprs: 37
; ScratchSize: 0
; MemoryBound: 0
; FloatMode: 240
; IeeeMode: 1
; LDSByteSize: 4128 bytes/workgroup (compile time only)
; SGPRBlocks: 0
; VGPRBlocks: 2
; NumSGPRsForWavesPerEU: 8
; NumVGPRsForWavesPerEU: 37
; NamedBarCnt: 0
; Occupancy: 16
; WaveLimiterHint : 0
; COMPUTE_PGM_RSRC2:SCRATCH_EN: 0
; COMPUTE_PGM_RSRC2:USER_SGPR: 2
; COMPUTE_PGM_RSRC2:TRAP_HANDLER: 0
; COMPUTE_PGM_RSRC2:TGID_X_EN: 1
; COMPUTE_PGM_RSRC2:TGID_Y_EN: 0
; COMPUTE_PGM_RSRC2:TGID_Z_EN: 0
; COMPUTE_PGM_RSRC2:TIDIG_COMP_CNT: 1
	.text
	.protected	_Z9IDCT2D8x8PfPKfj      ; -- Begin function _Z9IDCT2D8x8PfPKfj
	.globl	_Z9IDCT2D8x8PfPKfj
	.p2align	8
	.type	_Z9IDCT2D8x8PfPKfj,@function
_Z9IDCT2D8x8PfPKfj:                     ; @_Z9IDCT2D8x8PfPKfj
; %bb.0:
	s_bfe_u32 s3, ttmp6, 0x4000c
	s_load_b32 s2, s[0:1], 0x10
	s_add_co_i32 s3, s3, 1
	v_lshrrev_b32_e32 v1, 4, v0
	s_and_b32 s4, ttmp6, 15
	s_mul_i32 s3, ttmp9, s3
	s_getreg_b32 s5, hwreg(HW_REG_IB_STS2, 6, 4)
	s_add_co_i32 s4, s4, s3
	s_cmp_eq_u32 s5, 0
	v_and_b32_e32 v1, 0xffc0, v1
	s_cselect_b32 s3, ttmp9, s4
	s_mov_b32 s5, 0
	s_lshl_b32 s4, s3, 10
	s_delay_alu instid0(VALU_DEP_1) | instid1(SALU_CYCLE_1)
	v_add_nc_u32_e32 v2, s4, v1
	s_delay_alu instid0(VALU_DEP_1) | instskip(SKIP_1) | instid1(VALU_DEP_1)
	v_or_b32_e32 v2, 63, v2
	s_wait_kmcnt 0x0
	v_cmp_gt_u32_e32 vcc_lo, s2, v2
	s_and_saveexec_b32 s2, vcc_lo
	s_cbranch_execz .LBB1_2
; %bb.1:
	s_load_b128 s[0:3], s[0:1], 0x0
	v_and_b32_e32 v2, 0x3ff, v0
	s_lshl_b64 s[4:5], s[4:5], 2
	v_mov_b64_e32 v[22:23], 0x3e8d42af3f49234e
	v_mov_b64_e32 v[14:15], 0x3f49234e3fb18a86
	;; [unrolled: 1-line block ×3, first 2 shown]
	v_dual_add_nc_u32 v0, v1, v2 :: v_dual_lshlrev_b32 v2, 5, v2
	v_mov_b64_e32 v[12:13], 0x3f0a8bd43fa73d75
	v_mov_b64_e32 v[16:17], 0x3f9683173e8d42af
	;; [unrolled: 1-line block ×3, first 2 shown]
	s_delay_alu instid0(VALU_DEP_4)
	v_lshlrev_b32_e32 v29, 2, v0
	v_lshl_add_u32 v1, v1, 2, v2
	v_mov_b64_e32 v[20:21], 0x3fb18a863f49234e
	s_wait_kmcnt 0x0
	s_add_nc_u64 s[2:3], s[2:3], s[4:5]
	s_add_nc_u64 s[0:1], s[0:1], s[4:5]
	s_clause 0x7
	global_load_b32 v3, v0, s[2:3] scale_offset
	global_load_b32 v4, v0, s[2:3] offset:32 scale_offset
	global_load_b32 v5, v0, s[2:3] offset:64 scale_offset
	;; [unrolled: 1-line block ×7, first 2 shown]
	s_wait_xcnt 0x0
	s_mov_b32 s2, 0x3eb504f3
	s_wait_loadcnt 0x7
	ds_store_b32 v29, v3
	s_wait_loadcnt 0x6
	ds_store_b32 v29, v4 offset:32
	s_wait_loadcnt 0x5
	ds_store_b32 v29, v5 offset:64
	;; [unrolled: 2-line block ×7, first 2 shown]
	ds_load_b128 v[2:5], v1
	ds_load_b128 v[6:9], v1 offset:16
	v_mov_b64_e32 v[10:11], 0x3fa73d753f0a8bd4
	s_wait_dscnt 0x1
	v_pk_mul_f32 v[22:23], v[2:3], v[22:23] op_sel:[1,0]
	s_wait_dscnt 0x0
	s_delay_alu instid0(VALU_DEP_2) | instskip(SKIP_4) | instid1(VALU_DEP_4)
	v_pk_mul_f32 v[10:11], v[8:9], v[10:11] op_sel_hi:[0,1]
	v_dual_mov_b32 v30, v9 :: v_dual_mov_b32 v8, v3
	v_dual_add_f32 v26, v2, v6 :: v_dual_sub_f32 v27, v2, v6
	v_dual_mov_b32 v28, v9 :: v_dual_mov_b32 v2, v9
	v_mov_b32_e32 v31, v3
	v_pk_mul_f32 v[8:9], v[8:9], v[14:15]
	v_pk_fma_f32 v[34:35], v[4:5], v[12:13], v[10:11] op_sel_hi:[0,1,1] neg_lo:[0,0,1] neg_hi:[0,0,1]
	v_mov_b32_e32 v32, v5
	v_pk_fma_f32 v[2:3], v[2:3], v[24:25], v[22:23] op_sel_hi:[0,1,1] neg_lo:[0,0,1] neg_hi:[0,0,1]
	v_pk_fma_f32 v[4:5], v[4:5], v[12:13], v[10:11]
	v_pk_fma_f32 v[12:13], v[30:31], v[16:17], v[8:9] neg_lo:[0,0,1] neg_hi:[0,0,1]
	v_pk_fma_f32 v[10:11], v[28:29], v[24:25], v[22:23]
	v_pk_fma_f32 v[8:9], v[28:29], v[16:17], v[8:9]
	v_dual_mov_b32 v11, v3 :: v_dual_mov_b32 v5, v35
	v_pk_fma_f32 v[2:3], v[32:33], v[14:15], v[2:3] op_sel_hi:[0,1,1]
	v_mov_b32_e32 v9, v13
	v_pk_fma_f32 v[12:13], v[32:33], v[18:19], v[12:13] op_sel_hi:[0,1,1] neg_lo:[1,0,0] neg_hi:[1,0,0]
	s_delay_alu instid0(VALU_DEP_4)
	v_pk_fma_f32 v[10:11], v[32:33], v[14:15], v[10:11] op_sel_hi:[0,1,1] neg_lo:[1,0,0] neg_hi:[1,0,0]
	v_pk_add_f32 v[14:15], v[26:27], v[4:5] neg_lo:[0,1] neg_hi:[0,1]
	v_pk_fma_f32 v[2:3], v[6:7], v[16:17], v[2:3] op_sel:[1,0,0] neg_lo:[1,0,0] neg_hi:[1,0,0]
	v_pk_fma_f32 v[8:9], v[32:33], v[18:19], v[8:9] op_sel_hi:[0,1,1]
	v_pk_fma_f32 v[12:13], v[6:7], v[20:21], v[12:13] op_sel:[1,0,0] neg_lo:[1,0,0] neg_hi:[1,0,0]
	v_pk_fma_f32 v[10:11], v[6:7], v[16:17], v[10:11] op_sel:[1,0,0]
	s_delay_alu instid0(VALU_DEP_4) | instskip(SKIP_3) | instid1(VALU_DEP_4)
	v_mov_b32_e32 v11, v3
	v_pk_add_f32 v[2:3], v[26:27], v[4:5]
	v_pk_fma_f32 v[4:5], v[6:7], v[20:21], v[8:9] op_sel:[1,0,0]
	v_mov_b32_e32 v5, v13
	v_pk_add_f32 v[8:9], v[14:15], v[10:11] op_sel:[1,0] op_sel_hi:[0,1]
	v_pk_add_f32 v[6:7], v[14:15], v[10:11] op_sel:[1,0] op_sel_hi:[0,1] neg_lo:[0,1] neg_hi:[0,1]
	s_delay_alu instid0(VALU_DEP_3) | instskip(SKIP_1) | instid1(VALU_DEP_3)
	v_pk_add_f32 v[10:11], v[2:3], v[4:5] neg_lo:[0,1] neg_hi:[0,1]
	v_pk_add_f32 v[2:3], v[2:3], v[4:5]
	v_dual_mov_b32 v4, v9 :: v_dual_mov_b32 v5, v6
	s_delay_alu instid0(VALU_DEP_3) | instskip(SKIP_1) | instid1(VALU_DEP_4)
	v_pk_mul_f32 v[10:11], v[10:11], s[2:3] op_sel_hi:[1,0]
	v_mov_b32_e32 v9, v7
	v_pk_mul_f32 v[2:3], v[2:3], s[2:3] op_sel_hi:[1,0]
	s_delay_alu instid0(VALU_DEP_4) | instskip(NEXT) | instid1(VALU_DEP_3)
	v_pk_mul_f32 v[6:7], v[4:5], s[2:3] op_sel_hi:[1,0]
	v_pk_mul_f32 v[4:5], v[8:9], s[2:3] op_sel_hi:[1,0]
	v_dual_mov_b32 v8, v11 :: v_dual_mov_b32 v9, v10
	ds_store_b128 v1, v[2:5]
	ds_store_b128 v1, v[6:9] offset:16
	ds_load_2addr_b32 v[2:3], v29 offset0:32 offset1:40
	ds_load_2addr_b32 v[4:5], v29 offset1:8
	ds_load_2addr_b32 v[6:7], v29 offset0:48 offset1:56
	ds_load_2addr_b32 v[8:9], v29 offset0:16 offset1:24
	s_wait_dscnt 0x2
	v_mul_f32_e32 v11, 0x3fb18a86, v5
	v_dual_add_f32 v1, v4, v2 :: v_dual_mul_f32 v12, 0xbe8d42af, v5
	v_dual_sub_f32 v2, v4, v2 :: v_dual_mul_f32 v13, 0x3f49234e, v5
	s_wait_dscnt 0x1
	s_delay_alu instid0(VALU_DEP_3) | instskip(NEXT) | instid1(VALU_DEP_3)
	v_fmac_f32_e32 v11, 0x3e8d42af, v7
	v_fmac_f32_e32 v12, 0x3fb18a86, v7
	s_wait_dscnt 0x0
	s_delay_alu instid0(VALU_DEP_2) | instskip(NEXT) | instid1(VALU_DEP_1)
	v_fmac_f32_e32 v11, 0x3f968317, v9
	v_dual_fmac_f32 v12, 0x3f49234e, v9 :: v_dual_fmac_f32 v11, 0x3f49234e, v3
	v_mul_f32_e32 v4, 0x3fa73d75, v6
	s_delay_alu instid0(VALU_DEP_1) | instskip(SKIP_3) | instid1(VALU_DEP_4)
	v_fma_f32 v4, 0x3f0a8bd4, v8, -v4
	v_mul_f32_e32 v10, 0x3f0a8bd4, v6
	v_mul_f32_e32 v6, 0x3f49234e, v7
	v_fmac_f32_e32 v13, 0x3f968317, v7
	v_dual_add_f32 v7, v2, v4 :: v_dual_sub_f32 v2, v2, v4
	s_delay_alu instid0(VALU_DEP_3) | instskip(NEXT) | instid1(VALU_DEP_3)
	v_fma_f32 v5, 0x3f968317, v5, -v6
	v_fmac_f32_e32 v13, 0xbfb18a86, v9
	v_fmamk_f32 v4, v3, 0xbf968317, v12
	s_delay_alu instid0(VALU_DEP_3) | instskip(NEXT) | instid1(VALU_DEP_3)
	v_fmac_f32_e32 v5, 0xbe8d42af, v9
	v_fmac_f32_e32 v13, 0x3e8d42af, v3
	v_fmac_f32_e32 v10, 0x3fa73d75, v8
	s_delay_alu instid0(VALU_DEP_3) | instskip(NEXT) | instid1(VALU_DEP_2)
	v_fmac_f32_e32 v5, 0xbfb18a86, v3
	v_dual_sub_f32 v9, v2, v13 :: v_dual_add_f32 v6, v1, v10
	v_dual_sub_f32 v1, v1, v10 :: v_dual_add_f32 v2, v2, v13
	s_delay_alu instid0(VALU_DEP_1) | instskip(NEXT) | instid1(VALU_DEP_4)
	v_dual_add_f32 v3, v6, v11 :: v_dual_add_f32 v8, v1, v4
	v_dual_sub_f32 v1, v1, v4 :: v_dual_add_f32 v4, v7, v5
	v_dual_sub_f32 v6, v6, v11 :: v_dual_sub_f32 v5, v7, v5
	s_delay_alu instid0(VALU_DEP_3) | instskip(NEXT) | instid1(VALU_DEP_4)
	v_mul_f32_e32 v3, 0x3eb504f3, v3
	v_dual_mul_f32 v7, 0x3eb504f3, v8 :: v_dual_mul_f32 v8, 0x3eb504f3, v9
	s_delay_alu instid0(VALU_DEP_4)
	v_dual_mul_f32 v4, 0x3eb504f3, v4 :: v_dual_mul_f32 v1, 0x3eb504f3, v1
	v_mul_f32_e32 v2, 0x3eb504f3, v2
	v_dual_mul_f32 v6, 0x3eb504f3, v6 :: v_dual_mul_f32 v5, 0x3eb504f3, v5
	ds_store_b32 v29, v3
	ds_store_b32 v29, v4 offset:32
	ds_store_b32 v29, v7 offset:128
	;; [unrolled: 1-line block ×7, first 2 shown]
	s_clause 0x7
	global_store_b32 v0, v3, s[0:1] scale_offset
	global_store_b32 v0, v4, s[0:1] offset:32 scale_offset
	global_store_b32 v0, v2, s[0:1] offset:64 scale_offset
	global_store_b32 v0, v1, s[0:1] offset:96 scale_offset
	global_store_b32 v0, v7, s[0:1] offset:128 scale_offset
	global_store_b32 v0, v8, s[0:1] offset:160 scale_offset
	global_store_b32 v0, v5, s[0:1] offset:192 scale_offset
	global_store_b32 v0, v6, s[0:1] offset:224 scale_offset
.LBB1_2:
	s_endpgm
	.section	.rodata,"a",@progbits
	.p2align	6, 0x0
	.amdhsa_kernel _Z9IDCT2D8x8PfPKfj
		.amdhsa_group_segment_fixed_size 4128
		.amdhsa_private_segment_fixed_size 0
		.amdhsa_kernarg_size 20
		.amdhsa_user_sgpr_count 2
		.amdhsa_user_sgpr_dispatch_ptr 0
		.amdhsa_user_sgpr_queue_ptr 0
		.amdhsa_user_sgpr_kernarg_segment_ptr 1
		.amdhsa_user_sgpr_dispatch_id 0
		.amdhsa_user_sgpr_kernarg_preload_length 0
		.amdhsa_user_sgpr_kernarg_preload_offset 0
		.amdhsa_user_sgpr_private_segment_size 0
		.amdhsa_wavefront_size32 1
		.amdhsa_uses_dynamic_stack 0
		.amdhsa_enable_private_segment 0
		.amdhsa_system_sgpr_workgroup_id_x 1
		.amdhsa_system_sgpr_workgroup_id_y 0
		.amdhsa_system_sgpr_workgroup_id_z 0
		.amdhsa_system_sgpr_workgroup_info 0
		.amdhsa_system_vgpr_workitem_id 1
		.amdhsa_next_free_vgpr 36
		.amdhsa_next_free_sgpr 6
		.amdhsa_named_barrier_count 0
		.amdhsa_reserve_vcc 1
		.amdhsa_float_round_mode_32 0
		.amdhsa_float_round_mode_16_64 0
		.amdhsa_float_denorm_mode_32 3
		.amdhsa_float_denorm_mode_16_64 3
		.amdhsa_fp16_overflow 0
		.amdhsa_memory_ordered 1
		.amdhsa_forward_progress 1
		.amdhsa_inst_pref_size 11
		.amdhsa_round_robin_scheduling 0
		.amdhsa_exception_fp_ieee_invalid_op 0
		.amdhsa_exception_fp_denorm_src 0
		.amdhsa_exception_fp_ieee_div_zero 0
		.amdhsa_exception_fp_ieee_overflow 0
		.amdhsa_exception_fp_ieee_underflow 0
		.amdhsa_exception_fp_ieee_inexact 0
		.amdhsa_exception_int_div_zero 0
	.end_amdhsa_kernel
	.text
.Lfunc_end1:
	.size	_Z9IDCT2D8x8PfPKfj, .Lfunc_end1-_Z9IDCT2D8x8PfPKfj
                                        ; -- End function
	.set _Z9IDCT2D8x8PfPKfj.num_vgpr, 36
	.set _Z9IDCT2D8x8PfPKfj.num_agpr, 0
	.set _Z9IDCT2D8x8PfPKfj.numbered_sgpr, 6
	.set _Z9IDCT2D8x8PfPKfj.num_named_barrier, 0
	.set _Z9IDCT2D8x8PfPKfj.private_seg_size, 0
	.set _Z9IDCT2D8x8PfPKfj.uses_vcc, 1
	.set _Z9IDCT2D8x8PfPKfj.uses_flat_scratch, 0
	.set _Z9IDCT2D8x8PfPKfj.has_dyn_sized_stack, 0
	.set _Z9IDCT2D8x8PfPKfj.has_recursion, 0
	.set _Z9IDCT2D8x8PfPKfj.has_indirect_call, 0
	.section	.AMDGPU.csdata,"",@progbits
; Kernel info:
; codeLenInByte = 1344
; TotalNumSgprs: 8
; NumVgprs: 36
; ScratchSize: 0
; MemoryBound: 0
; FloatMode: 240
; IeeeMode: 1
; LDSByteSize: 4128 bytes/workgroup (compile time only)
; SGPRBlocks: 0
; VGPRBlocks: 2
; NumSGPRsForWavesPerEU: 8
; NumVGPRsForWavesPerEU: 36
; NamedBarCnt: 0
; Occupancy: 16
; WaveLimiterHint : 0
; COMPUTE_PGM_RSRC2:SCRATCH_EN: 0
; COMPUTE_PGM_RSRC2:USER_SGPR: 2
; COMPUTE_PGM_RSRC2:TRAP_HANDLER: 0
; COMPUTE_PGM_RSRC2:TGID_X_EN: 1
; COMPUTE_PGM_RSRC2:TGID_Y_EN: 0
; COMPUTE_PGM_RSRC2:TGID_Z_EN: 0
; COMPUTE_PGM_RSRC2:TIDIG_COMP_CNT: 1
	.text
	.p2alignl 7, 3214868480
	.fill 96, 4, 3214868480
	.section	.AMDGPU.gpr_maximums,"",@progbits
	.set amdgpu.max_num_vgpr, 0
	.set amdgpu.max_num_agpr, 0
	.set amdgpu.max_num_sgpr, 0
	.text
	.type	__hip_cuid_a1cde247d0d43c7d,@object ; @__hip_cuid_a1cde247d0d43c7d
	.section	.bss,"aw",@nobits
	.globl	__hip_cuid_a1cde247d0d43c7d
__hip_cuid_a1cde247d0d43c7d:
	.byte	0                               ; 0x0
	.size	__hip_cuid_a1cde247d0d43c7d, 1

	.ident	"AMD clang version 22.0.0git (https://github.com/RadeonOpenCompute/llvm-project roc-7.2.4 26084 f58b06dce1f9c15707c5f808fd002e18c2accf7e)"
	.section	".note.GNU-stack","",@progbits
	.addrsig
	.addrsig_sym __hip_cuid_a1cde247d0d43c7d
	.amdgpu_metadata
---
amdhsa.kernels:
  - .args:
      - .actual_access:  write_only
        .address_space:  global
        .offset:         0
        .size:           8
        .value_kind:     global_buffer
      - .actual_access:  read_only
        .address_space:  global
        .offset:         8
        .size:           8
        .value_kind:     global_buffer
      - .offset:         16
        .size:           4
        .value_kind:     by_value
    .group_segment_fixed_size: 4128
    .kernarg_segment_align: 8
    .kernarg_segment_size: 20
    .language:       OpenCL C
    .language_version:
      - 2
      - 0
    .max_flat_workgroup_size: 1024
    .name:           _Z8DCT2D8x8PfPKfj
    .private_segment_fixed_size: 0
    .sgpr_count:     8
    .sgpr_spill_count: 0
    .symbol:         _Z8DCT2D8x8PfPKfj.kd
    .uniform_work_group_size: 1
    .uses_dynamic_stack: false
    .vgpr_count:     37
    .vgpr_spill_count: 0
    .wavefront_size: 32
  - .args:
      - .actual_access:  write_only
        .address_space:  global
        .offset:         0
        .size:           8
        .value_kind:     global_buffer
      - .actual_access:  read_only
        .address_space:  global
        .offset:         8
        .size:           8
        .value_kind:     global_buffer
      - .offset:         16
        .size:           4
        .value_kind:     by_value
    .group_segment_fixed_size: 4128
    .kernarg_segment_align: 8
    .kernarg_segment_size: 20
    .language:       OpenCL C
    .language_version:
      - 2
      - 0
    .max_flat_workgroup_size: 1024
    .name:           _Z9IDCT2D8x8PfPKfj
    .private_segment_fixed_size: 0
    .sgpr_count:     8
    .sgpr_spill_count: 0
    .symbol:         _Z9IDCT2D8x8PfPKfj.kd
    .uniform_work_group_size: 1
    .uses_dynamic_stack: false
    .vgpr_count:     36
    .vgpr_spill_count: 0
    .wavefront_size: 32
amdhsa.target:   amdgcn-amd-amdhsa--gfx1250
amdhsa.version:
  - 1
  - 2
...

	.end_amdgpu_metadata
